;; amdgpu-corpus repo=ROCm/rocFFT kind=compiled arch=gfx906 opt=O3
	.text
	.amdgcn_target "amdgcn-amd-amdhsa--gfx906"
	.amdhsa_code_object_version 6
	.protected	fft_rtc_fwd_len272_factors_16_17_wgs_119_tpt_17_halfLds_half_ip_CI_unitstride_sbrr_R2C_dirReg ; -- Begin function fft_rtc_fwd_len272_factors_16_17_wgs_119_tpt_17_halfLds_half_ip_CI_unitstride_sbrr_R2C_dirReg
	.globl	fft_rtc_fwd_len272_factors_16_17_wgs_119_tpt_17_halfLds_half_ip_CI_unitstride_sbrr_R2C_dirReg
	.p2align	8
	.type	fft_rtc_fwd_len272_factors_16_17_wgs_119_tpt_17_halfLds_half_ip_CI_unitstride_sbrr_R2C_dirReg,@function
fft_rtc_fwd_len272_factors_16_17_wgs_119_tpt_17_halfLds_half_ip_CI_unitstride_sbrr_R2C_dirReg: ; @fft_rtc_fwd_len272_factors_16_17_wgs_119_tpt_17_halfLds_half_ip_CI_unitstride_sbrr_R2C_dirReg
; %bb.0:
	s_load_dwordx2 s[2:3], s[4:5], 0x50
	s_load_dwordx4 s[8:11], s[4:5], 0x0
	s_load_dwordx2 s[12:13], s[4:5], 0x18
	v_mul_u32_u24_e32 v1, 0xf10, v0
	v_lshrrev_b32_e32 v1, 16, v1
	v_mad_u64_u32 v[1:2], s[0:1], s6, 7, v[1:2]
	v_mov_b32_e32 v5, 0
	s_waitcnt lgkmcnt(0)
	v_cmp_lt_u64_e64 s[0:1], s[10:11], 2
	v_mov_b32_e32 v2, v5
	v_mov_b32_e32 v3, 0
	;; [unrolled: 1-line block ×3, first 2 shown]
	s_and_b64 vcc, exec, s[0:1]
	v_mov_b32_e32 v4, 0
	v_mov_b32_e32 v9, v1
	s_cbranch_vccnz .LBB0_8
; %bb.1:
	s_load_dwordx2 s[0:1], s[4:5], 0x10
	s_add_u32 s6, s12, 8
	s_addc_u32 s7, s13, 0
	v_mov_b32_e32 v3, 0
	v_mov_b32_e32 v8, v2
	s_waitcnt lgkmcnt(0)
	s_add_u32 s16, s0, 8
	s_mov_b64 s[14:15], 1
	v_mov_b32_e32 v4, 0
	s_addc_u32 s17, s1, 0
	v_mov_b32_e32 v7, v1
.LBB0_2:                                ; =>This Inner Loop Header: Depth=1
	s_load_dwordx2 s[18:19], s[16:17], 0x0
                                        ; implicit-def: $vgpr9_vgpr10
	s_waitcnt lgkmcnt(0)
	v_or_b32_e32 v6, s19, v8
	v_cmp_ne_u64_e32 vcc, 0, v[5:6]
	s_and_saveexec_b64 s[0:1], vcc
	s_xor_b64 s[20:21], exec, s[0:1]
	s_cbranch_execz .LBB0_4
; %bb.3:                                ;   in Loop: Header=BB0_2 Depth=1
	v_cvt_f32_u32_e32 v2, s18
	v_cvt_f32_u32_e32 v6, s19
	s_sub_u32 s0, 0, s18
	s_subb_u32 s1, 0, s19
	v_mac_f32_e32 v2, 0x4f800000, v6
	v_rcp_f32_e32 v2, v2
	v_mul_f32_e32 v2, 0x5f7ffffc, v2
	v_mul_f32_e32 v6, 0x2f800000, v2
	v_trunc_f32_e32 v6, v6
	v_mac_f32_e32 v2, 0xcf800000, v6
	v_cvt_u32_f32_e32 v6, v6
	v_cvt_u32_f32_e32 v2, v2
	v_mul_lo_u32 v9, s0, v6
	v_mul_hi_u32 v10, s0, v2
	v_mul_lo_u32 v12, s1, v2
	v_mul_lo_u32 v11, s0, v2
	v_add_u32_e32 v9, v10, v9
	v_add_u32_e32 v9, v9, v12
	v_mul_hi_u32 v10, v2, v11
	v_mul_lo_u32 v12, v2, v9
	v_mul_hi_u32 v14, v2, v9
	v_mul_hi_u32 v13, v6, v11
	v_mul_lo_u32 v11, v6, v11
	v_mul_hi_u32 v15, v6, v9
	v_add_co_u32_e32 v10, vcc, v10, v12
	v_addc_co_u32_e32 v12, vcc, 0, v14, vcc
	v_mul_lo_u32 v9, v6, v9
	v_add_co_u32_e32 v10, vcc, v10, v11
	v_addc_co_u32_e32 v10, vcc, v12, v13, vcc
	v_addc_co_u32_e32 v11, vcc, 0, v15, vcc
	v_add_co_u32_e32 v9, vcc, v10, v9
	v_addc_co_u32_e32 v10, vcc, 0, v11, vcc
	v_add_co_u32_e32 v2, vcc, v2, v9
	v_addc_co_u32_e32 v6, vcc, v6, v10, vcc
	v_mul_lo_u32 v9, s0, v6
	v_mul_hi_u32 v10, s0, v2
	v_mul_lo_u32 v11, s1, v2
	v_mul_lo_u32 v12, s0, v2
	v_add_u32_e32 v9, v10, v9
	v_add_u32_e32 v9, v9, v11
	v_mul_lo_u32 v13, v2, v9
	v_mul_hi_u32 v14, v2, v12
	v_mul_hi_u32 v15, v2, v9
	;; [unrolled: 1-line block ×3, first 2 shown]
	v_mul_lo_u32 v12, v6, v12
	v_mul_hi_u32 v10, v6, v9
	v_add_co_u32_e32 v13, vcc, v14, v13
	v_addc_co_u32_e32 v14, vcc, 0, v15, vcc
	v_mul_lo_u32 v9, v6, v9
	v_add_co_u32_e32 v12, vcc, v13, v12
	v_addc_co_u32_e32 v11, vcc, v14, v11, vcc
	v_addc_co_u32_e32 v10, vcc, 0, v10, vcc
	v_add_co_u32_e32 v9, vcc, v11, v9
	v_addc_co_u32_e32 v10, vcc, 0, v10, vcc
	v_add_co_u32_e32 v2, vcc, v2, v9
	v_addc_co_u32_e32 v6, vcc, v6, v10, vcc
	v_mad_u64_u32 v[9:10], s[0:1], v7, v6, 0
	v_mul_hi_u32 v11, v7, v2
	v_add_co_u32_e32 v13, vcc, v11, v9
	v_addc_co_u32_e32 v14, vcc, 0, v10, vcc
	v_mad_u64_u32 v[9:10], s[0:1], v8, v2, 0
	v_mad_u64_u32 v[11:12], s[0:1], v8, v6, 0
	v_add_co_u32_e32 v2, vcc, v13, v9
	v_addc_co_u32_e32 v2, vcc, v14, v10, vcc
	v_addc_co_u32_e32 v6, vcc, 0, v12, vcc
	v_add_co_u32_e32 v2, vcc, v2, v11
	v_addc_co_u32_e32 v6, vcc, 0, v6, vcc
	v_mul_lo_u32 v11, s19, v2
	v_mul_lo_u32 v12, s18, v6
	v_mad_u64_u32 v[9:10], s[0:1], s18, v2, 0
	v_add3_u32 v10, v10, v12, v11
	v_sub_u32_e32 v11, v8, v10
	v_mov_b32_e32 v12, s19
	v_sub_co_u32_e32 v9, vcc, v7, v9
	v_subb_co_u32_e64 v11, s[0:1], v11, v12, vcc
	v_subrev_co_u32_e64 v12, s[0:1], s18, v9
	v_subbrev_co_u32_e64 v11, s[0:1], 0, v11, s[0:1]
	v_cmp_le_u32_e64 s[0:1], s19, v11
	v_cndmask_b32_e64 v13, 0, -1, s[0:1]
	v_cmp_le_u32_e64 s[0:1], s18, v12
	v_cndmask_b32_e64 v12, 0, -1, s[0:1]
	v_cmp_eq_u32_e64 s[0:1], s19, v11
	v_cndmask_b32_e64 v11, v13, v12, s[0:1]
	v_add_co_u32_e64 v12, s[0:1], 2, v2
	v_addc_co_u32_e64 v13, s[0:1], 0, v6, s[0:1]
	v_add_co_u32_e64 v14, s[0:1], 1, v2
	v_addc_co_u32_e64 v15, s[0:1], 0, v6, s[0:1]
	v_subb_co_u32_e32 v10, vcc, v8, v10, vcc
	v_cmp_ne_u32_e64 s[0:1], 0, v11
	v_cmp_le_u32_e32 vcc, s19, v10
	v_cndmask_b32_e64 v11, v15, v13, s[0:1]
	v_cndmask_b32_e64 v13, 0, -1, vcc
	v_cmp_le_u32_e32 vcc, s18, v9
	v_cndmask_b32_e64 v9, 0, -1, vcc
	v_cmp_eq_u32_e32 vcc, s19, v10
	v_cndmask_b32_e32 v9, v13, v9, vcc
	v_cmp_ne_u32_e32 vcc, 0, v9
	v_cndmask_b32_e32 v10, v6, v11, vcc
	v_cndmask_b32_e64 v6, v14, v12, s[0:1]
	v_cndmask_b32_e32 v9, v2, v6, vcc
.LBB0_4:                                ;   in Loop: Header=BB0_2 Depth=1
	s_andn2_saveexec_b64 s[0:1], s[20:21]
	s_cbranch_execz .LBB0_6
; %bb.5:                                ;   in Loop: Header=BB0_2 Depth=1
	v_cvt_f32_u32_e32 v2, s18
	s_sub_i32 s20, 0, s18
	v_rcp_iflag_f32_e32 v2, v2
	v_mul_f32_e32 v2, 0x4f7ffffe, v2
	v_cvt_u32_f32_e32 v2, v2
	v_mul_lo_u32 v6, s20, v2
	v_mul_hi_u32 v6, v2, v6
	v_add_u32_e32 v2, v2, v6
	v_mul_hi_u32 v2, v7, v2
	v_mul_lo_u32 v6, v2, s18
	v_add_u32_e32 v9, 1, v2
	v_sub_u32_e32 v6, v7, v6
	v_subrev_u32_e32 v10, s18, v6
	v_cmp_le_u32_e32 vcc, s18, v6
	v_cndmask_b32_e32 v6, v6, v10, vcc
	v_cndmask_b32_e32 v2, v2, v9, vcc
	v_add_u32_e32 v9, 1, v2
	v_cmp_le_u32_e32 vcc, s18, v6
	v_cndmask_b32_e32 v9, v2, v9, vcc
	v_mov_b32_e32 v10, v5
.LBB0_6:                                ;   in Loop: Header=BB0_2 Depth=1
	s_or_b64 exec, exec, s[0:1]
	v_mul_lo_u32 v2, v10, s18
	v_mul_lo_u32 v6, v9, s19
	v_mad_u64_u32 v[11:12], s[0:1], v9, s18, 0
	s_load_dwordx2 s[0:1], s[6:7], 0x0
	s_add_u32 s14, s14, 1
	v_add3_u32 v2, v12, v6, v2
	v_sub_co_u32_e32 v6, vcc, v7, v11
	v_subb_co_u32_e32 v2, vcc, v8, v2, vcc
	s_waitcnt lgkmcnt(0)
	v_mul_lo_u32 v2, s0, v2
	v_mul_lo_u32 v7, s1, v6
	v_mad_u64_u32 v[3:4], s[0:1], s0, v6, v[3:4]
	s_addc_u32 s15, s15, 0
	s_add_u32 s6, s6, 8
	v_add3_u32 v4, v7, v4, v2
	v_mov_b32_e32 v6, s10
	v_mov_b32_e32 v7, s11
	s_addc_u32 s7, s7, 0
	v_cmp_ge_u64_e32 vcc, s[14:15], v[6:7]
	s_add_u32 s16, s16, 8
	s_addc_u32 s17, s17, 0
	s_cbranch_vccnz .LBB0_8
; %bb.7:                                ;   in Loop: Header=BB0_2 Depth=1
	v_mov_b32_e32 v7, v9
	v_mov_b32_e32 v8, v10
	s_branch .LBB0_2
.LBB0_8:
	s_lshl_b64 s[0:1], s[10:11], 3
	s_add_u32 s0, s12, s0
	s_addc_u32 s1, s13, s1
	s_load_dwordx2 s[6:7], s[0:1], 0x0
	s_load_dwordx2 s[10:11], s[4:5], 0x20
	s_mov_b32 s0, 0x24924925
	v_mul_hi_u32 v5, v1, s0
	s_waitcnt lgkmcnt(0)
	v_mad_u64_u32 v[2:3], s[0:1], s6, v9, v[3:4]
	v_sub_u32_e32 v4, v1, v5
	v_lshrrev_b32_e32 v4, 1, v4
	v_add_u32_e32 v4, v4, v5
	v_lshrrev_b32_e32 v4, 2, v4
	s_mov_b32 s0, 0xf0f0f10
	v_mul_lo_u32 v6, s6, v10
	v_mul_lo_u32 v7, s7, v9
	;; [unrolled: 1-line block ×3, first 2 shown]
	v_mul_hi_u32 v5, v0, s0
	v_cmp_gt_u64_e32 vcc, s[10:11], v[9:10]
	v_add3_u32 v3, v7, v3, v6
	v_sub_u32_e32 v1, v1, v4
	v_mul_u32_u24_e32 v4, 17, v5
	v_mul_u32_u24_e32 v1, 0x111, v1
	v_sub_u32_e32 v0, v0, v4
	v_lshlrev_b64 v[2:3], 2, v[2:3]
	v_lshlrev_b32_e32 v19, 2, v1
	v_lshlrev_b32_e32 v22, 2, v0
	s_and_saveexec_b64 s[4:5], vcc
	s_cbranch_execz .LBB0_10
; %bb.9:
	v_mov_b32_e32 v1, 0
	v_mov_b32_e32 v4, s3
	v_add_co_u32_e64 v6, s[0:1], s2, v2
	v_addc_co_u32_e64 v7, s[0:1], v4, v3, s[0:1]
	v_lshlrev_b64 v[4:5], 2, v[0:1]
	v_add_co_u32_e64 v4, s[0:1], v6, v4
	v_addc_co_u32_e64 v5, s[0:1], v7, v5, s[0:1]
	global_load_dword v1, v[4:5], off
	global_load_dword v6, v[4:5], off offset:68
	global_load_dword v7, v[4:5], off offset:136
	;; [unrolled: 1-line block ×14, first 2 shown]
	s_nop 0
	global_load_dword v4, v[4:5], off offset:1020
	v_add3_u32 v5, 0, v19, v22
	s_waitcnt vmcnt(14)
	ds_write2_b32 v5, v1, v6 offset1:17
	s_waitcnt vmcnt(12)
	ds_write2_b32 v5, v7, v8 offset0:34 offset1:51
	s_waitcnt vmcnt(10)
	ds_write2_b32 v5, v9, v10 offset0:68 offset1:85
	;; [unrolled: 2-line block ×7, first 2 shown]
.LBB0_10:
	s_or_b64 exec, exec, s[4:5]
	v_add_u32_e32 v18, 0, v22
	v_add_u32_e32 v21, 0, v19
	;; [unrolled: 1-line block ×3, first 2 shown]
	s_waitcnt lgkmcnt(0)
	s_barrier
	v_add_u32_e32 v20, v21, v22
	ds_read2_b32 v[4:5], v1 offset0:17 offset1:34
	ds_read2_b32 v[6:7], v1 offset0:51 offset1:68
	;; [unrolled: 1-line block ×4, first 2 shown]
	ds_read_b32 v23, v20
	ds_read2_b32 v[12:13], v1 offset0:153 offset1:170
	ds_read2_b32 v[14:15], v1 offset0:187 offset1:204
	;; [unrolled: 1-line block ×3, first 2 shown]
	ds_read_b32 v24, v1 offset:1020
	s_waitcnt lgkmcnt(4)
	v_pk_add_f16 v11, v23, v11 neg_lo:[0,1] neg_hi:[0,1]
	s_waitcnt lgkmcnt(3)
	v_pk_add_f16 v25, v5, v13 neg_lo:[0,1] neg_hi:[0,1]
	;; [unrolled: 2-line block ×3, first 2 shown]
	v_pk_fma_f16 v23, v23, 2.0, v11 op_sel_hi:[1,0,1] neg_lo:[0,0,1] neg_hi:[0,0,1]
	v_pk_fma_f16 v7, v7, 2.0, v15 op_sel_hi:[1,0,1] neg_lo:[0,0,1] neg_hi:[0,0,1]
	;; [unrolled: 1-line block ×3, first 2 shown]
	s_waitcnt lgkmcnt(1)
	v_pk_add_f16 v5, v9, v17 neg_lo:[0,1] neg_hi:[0,1]
	v_pk_fma_f16 v9, v9, 2.0, v5 op_sel_hi:[1,0,1] neg_lo:[0,0,1] neg_hi:[0,0,1]
	v_pk_add_f16 v7, v23, v7 neg_lo:[0,1] neg_hi:[0,1]
	v_lshrrev_b32_e32 v34, 16, v25
	v_pk_add_f16 v13, v8, v16 neg_lo:[0,1] neg_hi:[0,1]
	v_pk_add_f16 v16, v6, v14 neg_lo:[0,1] neg_hi:[0,1]
	;; [unrolled: 1-line block ×3, first 2 shown]
	v_sub_f16_sdwa v33, v25, v5 dst_sel:DWORD dst_unused:UNUSED_PAD src0_sel:DWORD src1_sel:WORD_1
	v_add_f16_e32 v35, v34, v5
	v_lshrrev_b32_e32 v5, 16, v7
	v_pk_add_f16 v12, v4, v12 neg_lo:[0,1] neg_hi:[0,1]
	v_pk_fma_f16 v17, v6, 2.0, v16 op_sel_hi:[1,0,1] neg_lo:[0,0,1] neg_hi:[0,0,1]
	s_waitcnt lgkmcnt(0)
	v_pk_add_f16 v6, v10, v24 neg_lo:[0,1] neg_hi:[0,1]
	v_sub_f16_sdwa v27, v11, v15 dst_sel:DWORD dst_unused:UNUSED_PAD src0_sel:DWORD src1_sel:WORD_1
	v_lshrrev_b32_e32 v30, 16, v11
	v_lshrrev_b32_e32 v40, 16, v16
	s_movk_i32 s1, 0x39a8
	v_add_f16_e32 v42, v5, v9
	v_pk_fma_f16 v4, v4, 2.0, v12 op_sel_hi:[1,0,1] neg_lo:[0,0,1] neg_hi:[0,0,1]
	v_pk_fma_f16 v8, v8, 2.0, v13 op_sel_hi:[1,0,1] neg_lo:[0,0,1] neg_hi:[0,0,1]
	;; [unrolled: 1-line block ×3, first 2 shown]
	v_add_f16_e32 v15, v30, v15
	v_sub_f16_sdwa v39, v16, v6 dst_sel:DWORD dst_unused:UNUSED_PAD src0_sel:DWORD src1_sel:WORD_1
	v_add_f16_e32 v41, v40, v6
	s_mov_b32 s0, 0xb9a8
	v_fma_f16 v6, v5, 2.0, -v42
	v_fma_f16 v5, v33, s1, v27
	v_pk_add_f16 v8, v4, v8 neg_lo:[0,1] neg_hi:[0,1]
	v_fma_f16 v43, v35, s0, v5
	v_fma_f16 v5, v35, s1, v15
	v_sub_f16_sdwa v36, v12, v13 dst_sel:DWORD dst_unused:UNUSED_PAD src0_sel:DWORD src1_sel:WORD_1
	v_lshrrev_b32_e32 v37, 16, v12
	v_pk_add_f16 v10, v17, v10 neg_lo:[0,1] neg_hi:[0,1]
	v_fma_f16 v44, v33, s1, v5
	v_lshrrev_b32_e32 v5, 16, v8
	v_add_f16_e32 v38, v37, v13
	v_add_f16_e32 v45, v5, v10
	v_fma_f16 v13, v39, s1, v36
	v_fma_f16 v5, v5, 2.0, -v45
	v_fma_f16 v46, v41, s0, v13
	v_fma_f16 v13, v41, s1, v38
	v_sub_f16_sdwa v48, v8, v10 dst_sel:DWORD dst_unused:UNUSED_PAD src0_sel:DWORD src1_sel:WORD_1
	v_fma_f16 v47, v39, s1, v13
	v_fma_f16 v13, v8, 2.0, -v48
	v_fma_f16 v14, v5, s0, v6
	v_sub_f16_sdwa v49, v7, v9 dst_sel:DWORD dst_unused:UNUSED_PAD src0_sel:DWORD src1_sel:WORD_1
	v_fma_f16 v31, v13, s1, v14
	v_fma_f16 v14, v7, 2.0, -v49
	v_fma_f16 v13, v13, s0, v14
	s_mov_b32 s5, 0xb61f
	v_fma_f16 v5, v5, s0, v13
	v_fma_f16 v13, v15, 2.0, -v44
	v_fma_f16 v24, v38, 2.0, -v47
	;; [unrolled: 1-line block ×3, first 2 shown]
	s_movk_i32 s6, 0x3b64
	v_fma_f16 v6, v36, 2.0, -v46
	v_fma_f16 v29, v24, s5, v13
	v_fma_f16 v50, v27, 2.0, -v43
	s_mov_b32 s4, 0xbb64
	v_fma_f16 v32, v6, s6, v29
	v_fma_f16 v6, v6, s5, v50
	;; [unrolled: 1-line block ×3, first 2 shown]
	v_fma_f16 v29, v13, 2.0, -v32
	v_mad_u32_u24 v24, v0, 60, v18
	v_fma_f16 v13, v14, 2.0, -v5
	v_fma_f16 v14, v50, 2.0, -v6
	v_add_u32_e32 v50, v24, v19
	v_pack_b32_f16 v18, v14, v29
	v_pack_b32_f16 v51, v13, v28
	v_pk_fma_f16 v23, v23, 2.0, v7 op_sel_hi:[1,0,1] neg_lo:[0,0,1] neg_hi:[0,0,1]
	v_fma_f16 v27, v11, 2.0, -v27
	v_pk_fma_f16 v7, v26, 2.0, v9 op_sel_hi:[1,0,1] neg_lo:[0,0,1] neg_hi:[0,0,1]
	v_fma_f16 v9, v25, 2.0, -v33
	s_barrier
	ds_write2_b32 v50, v51, v18 offset0:2 offset1:3
	v_fma_f16 v51, v30, 2.0, -v15
	v_fma_f16 v11, v34, 2.0, -v35
	v_pk_fma_f16 v4, v4, 2.0, v8 op_sel_hi:[1,0,1] neg_lo:[0,0,1] neg_hi:[0,0,1]
	v_pk_fma_f16 v8, v17, 2.0, v10 op_sel_hi:[1,0,1] neg_lo:[0,0,1] neg_hi:[0,0,1]
	v_fma_f16 v10, v16, 2.0, -v39
	v_fma_f16 v16, v9, s0, v27
	v_fma_f16 v12, v12, 2.0, -v36
	v_fma_f16 v26, v11, s0, v16
	v_fma_f16 v11, v11, s0, v51
	v_fma_f16 v25, v37, 2.0, -v38
	v_fma_f16 v15, v40, 2.0, -v41
	v_fma_f16 v9, v9, s1, v11
	v_fma_f16 v11, v10, s0, v12
	v_pk_add_f16 v39, v23, v7 neg_lo:[0,1] neg_hi:[0,1]
	v_fma_f16 v36, v15, s0, v11
	v_fma_f16 v11, v15, s0, v25
	v_pk_add_f16 v41, v4, v8 neg_lo:[0,1] neg_hi:[0,1]
	v_lshrrev_b32_e32 v8, 16, v39
	v_fma_f16 v37, v10, s1, v11
	s_movk_i32 s7, 0x361f
	v_add_f16_e32 v30, v8, v41
	v_fma_f16 v38, v8, 2.0, -v30
	v_fma_f16 v8, v37, s7, v9
	v_fma_f16 v33, v36, s6, v8
	;; [unrolled: 1-line block ×3, first 2 shown]
	v_sub_f16_sdwa v7, v39, v41 dst_sel:DWORD dst_unused:UNUSED_PAD src0_sel:DWORD src1_sel:WORD_1
	v_fma_f16 v16, v37, s4, v8
	v_fma_f16 v15, v39, 2.0, -v7
	v_fma_f16 v40, v9, 2.0, -v33
	;; [unrolled: 1-line block ×3, first 2 shown]
	v_pack_b32_f16 v8, v15, v38
	v_pack_b32_f16 v11, v10, v40
	ds_write2_b32 v50, v8, v11 offset0:4 offset1:5
	v_fma_f16 v8, v48, s1, v49
	v_fma_f16 v17, v45, s0, v8
	;; [unrolled: 1-line block ×7, first 2 shown]
	v_pk_fma_f16 v23, v23, 2.0, v39 op_sel_hi:[1,0,1] neg_lo:[0,0,1] neg_hi:[0,0,1]
	v_fma_f16 v26, v27, 2.0, -v26
	v_pk_fma_f16 v4, v4, 2.0, v41 op_sel_hi:[1,0,1] neg_lo:[0,0,1] neg_hi:[0,0,1]
	v_fma_f16 v12, v12, 2.0, -v36
	v_fma_f16 v18, v47, s5, v8
	v_fma_f16 v27, v51, 2.0, -v9
	v_fma_f16 v25, v25, 2.0, -v37
	v_pk_add_f16 v9, v23, v4 neg_lo:[0,1] neg_hi:[0,1]
	v_fma_f16 v4, v12, s4, v26
	v_fma_f16 v11, v49, 2.0, -v17
	v_fma_f16 v42, v42, 2.0, -v34
	;; [unrolled: 1-line block ×4, first 2 shown]
	v_fma_f16 v4, v25, s5, v4
	v_fma_f16 v25, v25, s4, v27
	v_pack_b32_f16 v43, v8, v45
	v_pack_b32_f16 v44, v11, v42
	v_fma_f16 v39, v12, s7, v25
	ds_write2_b32 v50, v44, v43 offset0:6 offset1:7
	v_pack_b32_f16 v43, v6, v32
	v_pack_b32_f16 v44, v5, v31
	v_fma_f16 v12, v26, 2.0, -v4
	v_fma_f16 v41, v27, 2.0, -v39
	ds_write2_b32 v50, v44, v43 offset0:10 offset1:11
	v_pack_b32_f16 v43, v7, v30
	v_pack_b32_f16 v44, v16, v33
	v_pk_fma_f16 v23, v23, 2.0, v9 op_sel_hi:[1,0,1] neg_lo:[0,0,1] neg_hi:[0,0,1]
	v_pack_b32_f16 v25, v12, v41
	ds_write2_b32 v50, v43, v44 offset0:12 offset1:13
	v_pack_b32_f16 v43, v18, v35
	v_pack_b32_f16 v44, v17, v34
	ds_write2_b32 v50, v23, v25 offset1:1
	v_pack_b32_f16 v25, v4, v39
	v_cmp_gt_u32_e64 s[0:1], 16, v0
	v_lshrrev_b32_e32 v46, 16, v9
	ds_write2_b32 v50, v44, v43 offset0:14 offset1:15
	ds_write2_b32 v50, v9, v25 offset0:8 offset1:9
	s_waitcnt lgkmcnt(0)
	s_barrier
	s_waitcnt lgkmcnt(0)
                                        ; implicit-def: $vgpr36
	s_and_saveexec_b64 s[4:5], s[0:1]
	s_cbranch_execz .LBB0_12
; %bb.11:
	v_mul_i32_i24_e32 v4, 0xffffffc4, v0
	v_add3_u32 v18, v24, v4, v19
	ds_read_b32 v23, v20
	ds_read2_b32 v[8:9], v18 offset0:112 offset1:128
	ds_read2_b32 v[12:13], v18 offset0:16 offset1:32
	;; [unrolled: 1-line block ×7, first 2 shown]
	v_add_u32_e32 v18, 0x200, v18
	ds_read2_b32 v[18:19], v18 offset0:112 offset1:128
	s_waitcnt lgkmcnt(7)
	v_lshrrev_b32_e32 v45, 16, v8
	v_lshrrev_b32_e32 v46, 16, v9
	s_waitcnt lgkmcnt(5)
	v_lshrrev_b32_e32 v39, 16, v4
	v_lshrrev_b32_e32 v31, 16, v5
	;; [unrolled: 3-line block ×5, first 2 shown]
	v_lshrrev_b32_e32 v41, 16, v12
	v_lshrrev_b32_e32 v28, 16, v13
	;; [unrolled: 1-line block ×6, first 2 shown]
.LBB0_12:
	s_or_b64 exec, exec, s[4:5]
	s_barrier
	s_and_saveexec_b64 s[4:5], s[0:1]
	s_cbranch_execz .LBB0_14
; %bb.13:
	v_lshlrev_b32_e32 v24, 6, v0
	v_and_b32_e32 v24, 0x3c0, v24
	global_load_dwordx4 v[47:50], v24, s[8:9] offset:48
	global_load_dwordx4 v[51:54], v24, s[8:9]
	global_load_dwordx4 v[55:58], v24, s[8:9] offset:32
	global_load_dwordx4 v[60:63], v24, s[8:9] offset:16
	s_movk_i32 s0, 0x3964
	s_movk_i32 s11, 0x3bf7
	;; [unrolled: 1-line block ×4, first 2 shown]
	s_mov_b32 s6, 0xb836
	s_mov_b32 s26, 0xbbb2
	;; [unrolled: 1-line block ×4, first 2 shown]
	s_movk_i32 s12, 0x39e9
	s_movk_i32 s10, 0x2de8
	s_mov_b32 s13, 0xb8d2
	s_mov_b32 s14, 0xbbdd
	;; [unrolled: 1-line block ×4, first 2 shown]
	s_movk_i32 s17, 0x3722
	s_movk_i32 s18, 0x3b76
	;; [unrolled: 1-line block ×3, first 2 shown]
	s_mov_b32 s22, 0xb1e1
	s_mov_b32 s24, 0xb964
	s_movk_i32 s23, 0x35c8
	s_movk_i32 s25, 0x3836
	s_mov_b32 s27, 0xba62
	s_movk_i32 s28, 0x3bb2
	s_mov_b32 s29, 0xbbf7
	s_waitcnt vmcnt(3)
	v_mul_f16_sdwa v37, v19, v50 dst_sel:DWORD dst_unused:UNUSED_PAD src0_sel:DWORD src1_sel:WORD_1
	s_waitcnt vmcnt(2)
	v_mul_f16_sdwa v43, v12, v51 dst_sel:DWORD dst_unused:UNUSED_PAD src0_sel:DWORD src1_sel:WORD_1
	v_mul_f16_sdwa v27, v33, v47 dst_sel:DWORD dst_unused:UNUSED_PAD src0_sel:DWORD src1_sel:WORD_1
	;; [unrolled: 1-line block ×13, first 2 shown]
	s_waitcnt vmcnt(0)
	v_mul_f16_sdwa v74, v40, v60 dst_sel:DWORD dst_unused:UNUSED_PAD src0_sel:DWORD src1_sel:WORD_1
	v_fma_f16 v27, v16, v47, -v27
	v_fma_f16 v16, v36, v50, v37
	v_fma_f16 v36, v14, v53, -v69
	v_fma_f16 v14, v41, v51, v43
	v_mul_f16_sdwa v67, v28, v52 dst_sel:DWORD dst_unused:UNUSED_PAD src0_sel:DWORD src1_sel:WORD_1
	v_mul_f16_sdwa v70, v15, v54 dst_sel:DWORD dst_unused:UNUSED_PAD src0_sel:DWORD src1_sel:WORD_1
	v_mul_f16_sdwa v72, v7, v58 dst_sel:DWORD dst_unused:UNUSED_PAD src0_sel:DWORD src1_sel:WORD_1
	v_mul_f16_sdwa v73, v10, v60 dst_sel:DWORD dst_unused:UNUSED_PAD src0_sel:DWORD src1_sel:WORD_1
	v_mul_f16_sdwa v75, v30, v58 dst_sel:DWORD dst_unused:UNUSED_PAD src0_sel:DWORD src1_sel:WORD_1
	v_fma_f16 v24, v19, v50, -v24
	v_fma_f16 v25, v18, v49, -v25
	;; [unrolled: 1-line block ×3, first 2 shown]
	v_fma_f16 v17, v35, v49, v59
	v_fma_f16 v18, v34, v48, v64
	v_fma_f16 v34, v12, v51, -v44
	v_fma_f16 v37, v15, v54, -v71
	v_fma_f16 v15, v28, v52, v66
	v_fma_f16 v41, v10, v60, -v74
	v_add_f16_e32 v10, v14, v16
	v_mul_f16_sdwa v83, v39, v55 dst_sel:DWORD dst_unused:UNUSED_PAD src0_sel:DWORD src1_sel:WORD_1
	v_fma_f16 v35, v13, v52, -v67
	v_fma_f16 v28, v29, v53, v68
	v_fma_f16 v29, v38, v54, v70
	;; [unrolled: 1-line block ×4, first 2 shown]
	v_fma_f16 v38, v7, v58, -v75
	v_sub_f16_e32 v60, v34, v24
	v_add_f16_e32 v13, v15, v17
	v_mul_f16_e32 v75, 0x39e9, v10
	v_mul_f16_sdwa v76, v6, v57 dst_sel:DWORD dst_unused:UNUSED_PAD src0_sel:DWORD src1_sel:WORD_1
	v_mul_f16_sdwa v77, v11, v61 dst_sel:DWORD dst_unused:UNUSED_PAD src0_sel:DWORD src1_sel:WORD_1
	;; [unrolled: 1-line block ×4, first 2 shown]
	v_fma_f16 v19, v33, v47, v65
	v_fma_f16 v43, v4, v55, -v83
	v_sub_f16_e32 v59, v35, v25
	v_add_f16_e32 v4, v28, v18
	v_mul_f16_e32 v74, 0x2de8, v13
	v_fma_f16 v44, v60, s0, v75
	v_mul_f16_sdwa v78, v42, v61 dst_sel:DWORD dst_unused:UNUSED_PAD src0_sel:DWORD src1_sel:WORD_1
	v_mul_f16_sdwa v79, v32, v57 dst_sel:DWORD dst_unused:UNUSED_PAD src0_sel:DWORD src1_sel:WORD_1
	;; [unrolled: 1-line block ×3, first 2 shown]
	v_fma_f16 v7, v32, v57, v76
	v_fma_f16 v32, v42, v61, v77
	v_fma_f16 v42, v5, v56, -v81
	v_sub_f16_e32 v58, v36, v26
	v_add_f16_e32 v5, v29, v19
	v_mul_f16_e32 v73, 0xb8d2, v4
	v_fma_f16 v47, v59, s11, v74
	v_add_f16_sdwa v44, v23, v44 dst_sel:DWORD dst_unused:UNUSED_PAD src0_sel:WORD_1 src1_sel:DWORD
	v_fma_f16 v40, v6, v57, -v79
	v_sub_f16_e32 v57, v37, v27
	v_add_f16_e32 v6, v30, v12
	v_mul_f16_e32 v72, 0xbbdd, v5
	v_fma_f16 v48, v58, s7, v73
	v_add_f16_e32 v44, v47, v44
	v_fma_f16 v33, v39, v55, v82
	v_sub_f16_e32 v55, v41, v38
	v_mul_f16_e32 v70, 0xbacd, v6
	v_fma_f16 v49, v57, s1, v72
	v_add_f16_e32 v44, v48, v44
	v_fma_f16 v50, v55, s6, v70
	v_add_f16_e32 v44, v49, v44
	v_fma_f16 v51, v11, v61, -v78
	v_mul_f16_sdwa v11, v8, v62 dst_sel:DWORD dst_unused:UNUSED_PAD src0_sel:DWORD src1_sel:WORD_1
	v_add_f16_e32 v48, v50, v44
	v_fma_f16 v44, v45, v62, v11
	v_mul_f16_sdwa v11, v45, v62 dst_sel:DWORD dst_unused:UNUSED_PAD src0_sel:DWORD src1_sel:WORD_1
	v_fma_f16 v31, v31, v56, v80
	v_add_f16_e32 v39, v32, v7
	v_fma_f16 v52, v8, v62, -v11
	v_mul_f16_sdwa v8, v46, v63 dst_sel:DWORD dst_unused:UNUSED_PAD src0_sel:DWORD src1_sel:WORD_1
	v_fma_f16 v53, v9, v63, -v8
	v_mul_f16_sdwa v8, v9, v63 dst_sel:DWORD dst_unused:UNUSED_PAD src0_sel:DWORD src1_sel:WORD_1
	v_mul_f16_e32 v81, 0xb461, v39
	v_sub_f16_e32 v64, v51, v40
	v_add_f16_e32 v9, v44, v31
	v_fma_f16 v47, v46, v63, v8
	v_fma_f16 v8, v64, s26, v81
	v_mul_f16_e32 v83, 0x3722, v9
	v_sub_f16_e32 v65, v52, v42
	v_add_f16_e32 v8, v8, v48
	v_fma_f16 v11, v65, s20, v83
	v_add_f16_e32 v8, v11, v8
	v_add_f16_e32 v11, v47, v33
	v_mul_f16_e32 v84, 0x3b76, v11
	v_sub_f16_e32 v67, v53, v43
	v_fma_f16 v45, v67, s19, v84
	v_sub_f16_e32 v68, v14, v16
	v_add_f16_e32 v8, v45, v8
	v_add_f16_e32 v45, v34, v24
	v_mul_f16_e32 v85, 0xb964, v68
	v_fma_f16 v46, v45, s12, v85
	v_sub_f16_e32 v69, v15, v17
	v_add_f16_e32 v48, v23, v46
	v_add_f16_e32 v46, v35, v25
	v_mul_f16_e32 v87, 0xbbf7, v69
	;; [unrolled: 5-line block ×8, first 2 shown]
	v_fma_f16 v63, v62, s18, v94
	v_mul_f16_e32 v95, 0x3722, v10
	v_add_f16_e32 v50, v63, v50
	v_fma_f16 v63, v60, s21, v95
	v_mul_f16_e32 v96, 0xb8d2, v13
	v_add_f16_sdwa v63, v23, v63 dst_sel:DWORD dst_unused:UNUSED_PAD src0_sel:WORD_1 src1_sel:DWORD
	v_fma_f16 v66, v59, s7, v96
	v_mul_f16_e32 v97, 0xbbdd, v4
	v_add_f16_e32 v63, v66, v63
	v_fma_f16 v66, v58, s22, v97
	v_mul_f16_e32 v98, 0xb461, v5
	v_add_f16_e32 v63, v66, v63
	;; [unrolled: 3-line block ×15, first 2 shown]
	v_fma_f16 v79, v60, s11, v111
	v_mul_f16_e32 v112, 0xbbdd, v13
	v_add_f16_sdwa v79, v23, v79 dst_sel:DWORD dst_unused:UNUSED_PAD src0_sel:WORD_1 src1_sel:DWORD
	v_fma_f16 v86, v59, s1, v112
	v_mul_f16_e32 v113, 0xb461, v4
	v_add_f16_e32 v79, v86, v79
	v_fma_f16 v86, v58, s26, v113
	v_mul_f16_e32 v114, 0x3b76, v5
	v_add_f16_e32 v79, v86, v79
	;; [unrolled: 3-line block ×15, first 2 shown]
	v_fma_f16 v93, v60, s28, v127
	v_mul_f16_e32 v128, 0xbacd, v13
	v_add_f16_sdwa v93, v23, v93 dst_sel:DWORD dst_unused:UNUSED_PAD src0_sel:WORD_1 src1_sel:DWORD
	v_fma_f16 v129, v59, s6, v128
	v_add_f16_e32 v93, v129, v93
	v_mul_f16_e32 v129, 0x39e9, v4
	v_fma_f16 v130, v58, s24, v129
	v_add_f16_e32 v93, v130, v93
	v_mul_f16_e32 v130, 0x3722, v5
	v_fma_f16 v131, v57, s21, v130
	v_add_f16_e32 v93, v131, v93
	v_mul_f16_e32 v131, 0xbbdd, v6
	v_fma_f16 v132, v55, s1, v131
	v_add_f16_e32 v93, v132, v93
	v_mul_f16_e32 v132, 0x2de8, v39
	v_fma_f16 v133, v64, s29, v132
	v_add_f16_e32 v93, v133, v93
	v_mul_f16_e32 v133, 0x3b76, v9
	v_fma_f16 v134, v65, s23, v133
	v_add_f16_e32 v93, v134, v93
	v_mul_f16_e32 v134, 0xb8d2, v11
	v_fma_f16 v135, v67, s7, v134
	v_add_f16_e32 v93, v135, v93
	v_mul_f16_e32 v135, 0xbbb2, v68
	v_fma_f16 v136, v45, s16, v135
	v_mul_f16_e32 v137, 0x3836, v69
	v_add_f16_e32 v136, v23, v136
	v_fma_f16 v138, v46, s15, v137
	v_add_f16_e32 v136, v138, v136
	v_mul_f16_e32 v138, 0x3964, v71
	v_fma_f16 v139, v48, s12, v138
	v_add_f16_e32 v136, v139, v136
	v_mul_f16_e32 v139, 0xbb29, v76
	;; [unrolled: 3-line block ×7, first 2 shown]
	v_fma_f16 v145, v60, s7, v144
	v_mul_f16_e32 v146, 0xb461, v13
	v_add_f16_sdwa v145, v23, v145 dst_sel:DWORD dst_unused:UNUSED_PAD src0_sel:WORD_1 src1_sel:DWORD
	v_fma_f16 v147, v59, s26, v146
	v_add_f16_e32 v145, v147, v145
	v_mul_f16_e32 v147, 0x3b76, v4
	v_fma_f16 v148, v58, s23, v147
	v_add_f16_e32 v145, v148, v145
	v_mul_f16_e32 v148, 0xbacd, v5
	v_fma_f16 v149, v57, s25, v148
	v_add_f16_e32 v145, v149, v145
	v_mul_f16_e32 v149, 0x2de8, v6
	v_fma_f16 v150, v55, s29, v149
	v_add_f16_e32 v145, v150, v145
	v_mul_f16_e32 v150, 0x39e9, v39
	v_fma_f16 v151, v64, s0, v150
	v_add_f16_e32 v145, v151, v145
	v_mul_f16_e32 v151, 0xbbdd, v9
	v_fma_f16 v152, v65, s1, v151
	v_add_f16_e32 v145, v152, v145
	v_mul_f16_e32 v152, 0x3722, v11
	v_fma_f16 v153, v67, s20, v152
	v_add_f16_e32 v145, v153, v145
	v_mul_f16_e32 v153, 0xba62, v68
	v_fma_f16 v154, v45, s13, v153
	v_mul_f16_e32 v155, 0x3bb2, v69
	v_add_f16_e32 v154, v23, v154
	v_fma_f16 v156, v46, s16, v155
	v_add_f16_e32 v154, v156, v154
	v_mul_f16_e32 v156, 0xb5c8, v71
	v_fma_f16 v157, v48, s18, v156
	v_add_f16_e32 v154, v157, v154
	v_mul_f16_e32 v157, 0xb836, v76
	;; [unrolled: 3-line block ×7, first 2 shown]
	v_fma_f16 v163, v60, s25, v162
	v_mul_f16_e32 v164, 0x3722, v13
	v_add_f16_sdwa v163, v23, v163 dst_sel:DWORD dst_unused:UNUSED_PAD src0_sel:WORD_1 src1_sel:DWORD
	v_fma_f16 v165, v59, s20, v164
	v_add_f16_e32 v163, v165, v163
	v_mul_f16_e32 v165, 0x2de8, v4
	v_fma_f16 v166, v58, s11, v165
	v_add_f16_e32 v163, v166, v163
	v_mul_f16_e32 v166, 0xb8d2, v5
	;; [unrolled: 3-line block ×7, first 2 shown]
	v_fma_f16 v172, v45, s15, v171
	v_mul_f16_e32 v173, 0x3b29, v69
	v_add_f16_e32 v172, v23, v172
	v_fma_f16 v174, v46, s17, v173
	v_add_f16_e32 v172, v174, v172
	v_mul_f16_e32 v174, 0xbbf7, v71
	v_fma_f16 v175, v48, s10, v174
	v_add_f16_e32 v172, v175, v172
	v_mul_f16_e32 v175, 0x3a62, v76
	;; [unrolled: 3-line block ×3, first 2 shown]
	v_fma_f16 v177, v54, s18, v176
	v_fma_f16 v75, v60, s24, v75
	v_add_f16_e32 v172, v177, v172
	v_mul_f16_e32 v177, 0xb1e1, v78
	v_add_f16_sdwa v75, v23, v75 dst_sel:DWORD dst_unused:UNUSED_PAD src0_sel:WORD_1 src1_sel:DWORD
	v_fma_f16 v74, v59, s29, v74
	v_fma_f16 v178, v56, s14, v177
	v_add_f16_e32 v74, v74, v75
	v_fma_f16 v73, v58, s27, v73
	v_add_f16_e32 v172, v178, v172
	v_mul_f16_e32 v178, 0x3964, v80
	v_add_f16_e32 v73, v73, v74
	v_fma_f16 v72, v57, s22, v72
	v_fma_f16 v179, v61, s12, v178
	v_add_f16_e32 v72, v72, v73
	v_fma_f16 v70, v55, s25, v70
	v_add_f16_e32 v172, v179, v172
	v_mul_f16_e32 v179, 0xbbb2, v82
	v_add_f16_e32 v70, v70, v72
	;; [unrolled: 7-line block ×3, first 2 shown]
	v_fma_f16 v72, v67, s23, v84
	v_fma_f16 v181, v60, s1, v180
	v_mul_f16_e32 v182, 0x3b76, v13
	v_add_f16_e32 v70, v72, v70
	v_fma_f16 v72, v45, s12, -v85
	v_add_f16_sdwa v181, v23, v181 dst_sel:DWORD dst_unused:UNUSED_PAD src0_sel:WORD_1 src1_sel:DWORD
	v_fma_f16 v183, v59, s19, v182
	v_add_f16_e32 v72, v23, v72
	v_fma_f16 v73, v46, s10, -v87
	v_add_f16_e32 v181, v183, v181
	v_mul_f16_e32 v183, 0xbacd, v4
	v_add_f16_e32 v72, v73, v72
	v_fma_f16 v73, v48, s13, -v88
	v_fma_f16 v184, v58, s25, v183
	v_add_f16_e32 v72, v73, v72
	v_fma_f16 v73, v49, s14, -v89
	v_add_f16_sdwa v14, v23, v14 dst_sel:DWORD dst_unused:UNUSED_PAD src0_sel:WORD_1 src1_sel:DWORD
	v_add_f16_e32 v181, v184, v181
	v_mul_f16_e32 v184, 0x39e9, v5
	v_add_f16_e32 v72, v73, v72
	v_fma_f16 v73, v54, s15, -v90
	v_add_f16_e32 v14, v14, v15
	v_fma_f16 v185, v57, s24, v184
	v_add_f16_e32 v72, v73, v72
	v_fma_f16 v73, v56, s16, -v91
	v_add_f16_e32 v14, v14, v28
	v_add_f16_e32 v181, v185, v181
	v_mul_f16_e32 v185, 0xb8d2, v6
	v_add_f16_e32 v72, v73, v72
	v_fma_f16 v73, v61, s17, -v92
	v_add_f16_e32 v14, v14, v29
	v_fma_f16 v186, v55, s7, v185
	v_fma_f16 v180, v60, s22, v180
	;; [unrolled: 1-line block ×7, first 2 shown]
	v_add_f16_e32 v72, v73, v72
	v_fma_f16 v73, v62, s18, -v94
	v_mul_f16_e32 v60, 0xb5c8, v60
	v_add_f16_e32 v14, v14, v30
	v_add_f16_e32 v181, v186, v181
	v_mul_f16_e32 v186, 0x3722, v39
	v_add_f16_sdwa v180, v23, v180 dst_sel:DWORD dst_unused:UNUSED_PAD src0_sel:WORD_1 src1_sel:DWORD
	v_fma_f16 v182, v59, s23, v182
	v_add_f16_sdwa v162, v23, v162 dst_sel:DWORD dst_unused:UNUSED_PAD src0_sel:WORD_1 src1_sel:DWORD
	v_fma_f16 v164, v59, s21, v164
	;; [unrolled: 2-line block ×6, first 2 shown]
	v_add_f16_e32 v72, v73, v72
	v_fma_f16 v73, v10, s18, v60
	v_mul_f16_e32 v59, 0xb964, v59
	v_add_f16_e32 v14, v14, v32
	v_fma_f16 v187, v64, s20, v186
	v_add_f16_e32 v180, v182, v180
	v_fma_f16 v182, v58, s6, v183
	;; [unrolled: 2-line block ×7, first 2 shown]
	v_add_f16_sdwa v73, v23, v73 dst_sel:DWORD dst_unused:UNUSED_PAD src0_sel:WORD_1 src1_sel:DWORD
	v_fma_f16 v74, v13, s12, v59
	v_mul_f16_e32 v58, 0xbb29, v58
	v_add_f16_e32 v14, v14, v44
	v_add_f16_e32 v181, v187, v181
	v_mul_f16_e32 v187, 0xb461, v9
	v_add_f16_e32 v180, v182, v180
	v_fma_f16 v182, v57, s0, v184
	v_add_f16_e32 v162, v164, v162
	v_fma_f16 v164, v57, s7, v166
	v_add_f16_e32 v144, v146, v144
	v_fma_f16 v146, v57, s6, v148
	v_add_f16_e32 v127, v128, v127
	v_fma_f16 v128, v57, s20, v130
	v_add_f16_e32 v111, v112, v111
	v_fma_f16 v112, v57, s23, v114
	v_add_f16_e32 v95, v96, v95
	v_fma_f16 v96, v57, s28, v98
	v_add_f16_e32 v73, v74, v73
	v_fma_f16 v74, v4, s17, v58
	v_mul_f16_e32 v57, 0xbbf7, v57
	v_add_f16_e32 v14, v14, v47
	v_fma_f16 v188, v65, s28, v187
	v_add_f16_e32 v180, v182, v180
	v_fma_f16 v182, v55, s27, v185
	;; [unrolled: 2-line block ×8, first 2 shown]
	v_mul_f16_e32 v55, 0xbbb2, v55
	v_add_f16_e32 v14, v14, v33
	v_add_f16_e32 v181, v188, v181
	v_mul_f16_e32 v188, 0x2de8, v11
	v_add_f16_e32 v180, v182, v180
	v_fma_f16 v182, v64, s21, v186
	v_add_f16_e32 v162, v164, v162
	v_fma_f16 v164, v64, s22, v168
	;; [unrolled: 2-line block ×7, first 2 shown]
	v_mul_f16_e32 v64, 0xba62, v64
	v_add_f16_e32 v14, v14, v31
	v_fma_f16 v189, v67, s29, v188
	v_add_f16_e32 v180, v182, v180
	v_fma_f16 v182, v65, s26, v187
	;; [unrolled: 2-line block ×8, first 2 shown]
	v_mul_f16_e32 v65, 0xb836, v65
	v_add_f16_e32 v34, v23, v34
	v_add_f16_e32 v7, v14, v7
	v_fma_f16 v10, v10, s18, -v60
	v_add_f16_e32 v181, v189, v181
	v_mul_f16_e32 v189, 0xb1e1, v68
	v_add_f16_e32 v180, v182, v180
	v_fma_f16 v182, v67, s11, v188
	v_add_f16_e32 v162, v164, v162
	v_fma_f16 v164, v67, s26, v170
	;; [unrolled: 2-line block ×7, first 2 shown]
	v_mul_f16_e32 v67, 0xb1e1, v67
	v_add_f16_e32 v34, v34, v35
	v_add_f16_e32 v7, v7, v12
	v_fma_f16 v12, v13, s12, -v59
	v_add_f16_sdwa v10, v23, v10 dst_sel:DWORD dst_unused:UNUSED_PAD src0_sel:WORD_1 src1_sel:DWORD
	v_fma_f16 v190, v45, s14, v189
	v_mul_f16_e32 v191, 0x35c8, v69
	v_add_f16_e32 v73, v74, v73
	v_fma_f16 v74, v11, s14, v67
	v_mul_f16_e32 v68, 0xb5c8, v68
	v_add_f16_e32 v34, v34, v36
	v_add_f16_e32 v10, v12, v10
	v_fma_f16 v4, v4, s17, -v58
	v_add_f16_e32 v190, v23, v190
	v_fma_f16 v192, v46, s18, v191
	v_add_f16_e32 v73, v74, v73
	v_fma_f16 v74, v45, s18, -v68
	v_mul_f16_e32 v69, 0xb964, v69
	v_add_f16_e32 v34, v34, v37
	v_add_f16_e32 v4, v4, v10
	v_fma_f16 v5, v5, s10, -v57
	v_add_f16_e32 v190, v192, v190
	v_mul_f16_e32 v192, 0xb836, v71
	v_add_f16_e32 v74, v23, v74
	v_fma_f16 v75, v46, s12, -v69
	v_mul_f16_e32 v71, 0xbb29, v71
	v_add_f16_e32 v34, v34, v41
	v_add_f16_e32 v4, v5, v4
	v_fma_f16 v5, v6, s16, -v55
	v_add_f16_e32 v74, v75, v74
	v_fma_f16 v75, v48, s17, -v71
	v_add_f16_e32 v34, v34, v51
	v_add_f16_e32 v4, v5, v4
	v_fma_f16 v5, v39, s13, -v64
	v_fma_f16 v193, v48, s15, v192
	v_add_f16_e32 v74, v75, v74
	v_mul_f16_e32 v75, 0xbbf7, v76
	v_add_f16_e32 v34, v34, v52
	v_add_f16_e32 v4, v5, v4
	v_fma_f16 v5, v9, s15, -v65
	v_add_f16_e32 v190, v193, v190
	v_mul_f16_e32 v193, 0x3964, v76
	v_fma_f16 v76, v49, s10, -v75
	v_add_f16_e32 v34, v34, v53
	v_add_f16_e32 v4, v5, v4
	v_fma_f16 v5, v11, s14, -v67
	v_fma_f16 v194, v49, s12, v193
	v_add_f16_e32 v74, v76, v74
	v_mul_f16_e32 v76, 0xbbb2, v77
	v_add_f16_e32 v34, v34, v43
	v_add_f16_e32 v4, v5, v4
	v_fma_f16 v5, v45, s18, v68
	v_add_f16_e32 v190, v194, v190
	v_mul_f16_e32 v194, 0xba62, v77
	v_add_f16_e32 v111, v112, v111
	v_fma_f16 v112, v45, s10, -v119
	v_add_f16_e32 v95, v96, v95
	v_fma_f16 v96, v45, s17, -v103
	v_fma_f16 v77, v54, s16, -v76
	v_add_f16_e32 v34, v34, v42
	v_add_f16_e32 v5, v23, v5
	v_fma_f16 v6, v46, s12, v69
	v_fma_f16 v195, v54, s13, v194
	v_add_f16_e32 v144, v146, v144
	v_fma_f16 v146, v45, s13, -v153
	v_add_f16_e32 v127, v128, v127
	v_fma_f16 v128, v45, s16, -v135
	;; [unrolled: 2-line block ×4, first 2 shown]
	v_add_f16_e32 v74, v77, v74
	v_mul_f16_e32 v77, 0xba62, v78
	v_add_f16_e32 v34, v34, v40
	v_add_f16_e32 v5, v6, v5
	v_fma_f16 v6, v48, s17, v71
	v_add_f16_e32 v190, v195, v190
	v_mul_f16_e32 v195, 0x3b29, v78
	v_add_f16_e32 v180, v182, v180
	v_fma_f16 v182, v45, s14, -v189
	v_add_f16_e32 v162, v164, v162
	v_fma_f16 v164, v45, s15, -v171
	;; [unrolled: 2-line block ×6, first 2 shown]
	v_fma_f16 v78, v56, s13, -v77
	v_add_f16_e32 v34, v34, v38
	v_add_f16_e32 v5, v6, v5
	v_fma_f16 v6, v49, s10, v75
	v_fma_f16 v196, v56, s17, v195
	v_add_f16_e32 v182, v23, v182
	v_fma_f16 v183, v46, s18, -v191
	v_add_f16_e32 v164, v23, v164
	v_fma_f16 v165, v46, s17, -v173
	;; [unrolled: 2-line block ×6, first 2 shown]
	v_add_f16_e32 v74, v78, v74
	v_mul_f16_e32 v78, 0xb836, v80
	v_add_f16_e32 v27, v34, v27
	v_add_f16_e32 v7, v7, v19
	;; [unrolled: 1-line block ×3, first 2 shown]
	v_fma_f16 v6, v54, s16, v76
	v_add_f16_e32 v190, v196, v190
	v_mul_f16_e32 v196, 0xbbb2, v80
	v_add_f16_e32 v182, v183, v182
	v_fma_f16 v183, v48, s15, -v192
	v_add_f16_e32 v164, v165, v164
	v_fma_f16 v165, v48, s10, -v174
	;; [unrolled: 2-line block ×6, first 2 shown]
	v_fma_f16 v80, v61, s15, -v78
	v_add_f16_e32 v26, v27, v26
	v_add_f16_e32 v7, v7, v18
	;; [unrolled: 1-line block ×3, first 2 shown]
	v_fma_f16 v6, v56, s13, v77
	v_add_f16_e32 v182, v183, v182
	v_fma_f16 v183, v49, s12, -v193
	v_add_f16_e32 v164, v165, v164
	v_fma_f16 v165, v49, s13, -v175
	;; [unrolled: 2-line block ×6, first 2 shown]
	v_add_f16_e32 v74, v80, v74
	v_mul_f16_e32 v80, 0xb1e1, v82
	v_add_f16_e32 v25, v26, v25
	v_add_f16_e32 v7, v7, v17
	;; [unrolled: 1-line block ×3, first 2 shown]
	v_fma_f16 v6, v61, s15, v78
	v_add_f16_e32 v182, v183, v182
	v_fma_f16 v183, v54, s13, -v194
	v_add_f16_e32 v164, v165, v164
	v_fma_f16 v165, v54, s18, -v176
	;; [unrolled: 2-line block ×6, first 2 shown]
	v_fma_f16 v81, v62, s14, -v80
	v_add_f16_e32 v24, v25, v24
	v_add_f16_e32 v7, v7, v16
	;; [unrolled: 1-line block ×3, first 2 shown]
	v_fma_f16 v6, v62, s14, v80
	v_fma_f16 v197, v61, s16, v196
	v_add_f16_e32 v182, v183, v182
	v_fma_f16 v183, v56, s17, -v195
	v_add_f16_e32 v164, v165, v164
	v_fma_f16 v165, v56, s14, -v177
	;; [unrolled: 2-line block ×6, first 2 shown]
	v_add_f16_e32 v74, v81, v74
	v_add_f16_e32 v5, v6, v5
	v_pack_b32_f16 v6, v24, v7
	v_add_f16_e32 v190, v197, v190
	v_mul_f16_e32 v197, 0x3bf7, v82
	v_add_f16_e32 v182, v183, v182
	v_fma_f16 v183, v61, s16, -v196
	v_add_f16_e32 v164, v165, v164
	v_fma_f16 v165, v61, s12, -v178
	;; [unrolled: 2-line block ×4, first 2 shown]
	v_add_f16_e32 v112, v113, v112
	v_add_f16_e32 v96, v97, v96
	ds_write_b32 v20, v6
	v_pack_b32_f16 v6, v74, v73
	v_pack_b32_f16 v7, v72, v70
	v_add_f16_e32 v182, v183, v182
	v_fma_f16 v183, v62, s10, -v197
	v_add_f16_e32 v164, v165, v164
	v_fma_f16 v165, v62, s16, -v179
	v_add_f16_e32 v146, v147, v146
	v_add_f16_e32 v128, v129, v128
	ds_write2_b32 v1, v6, v7 offset0:16 offset1:32
	v_pack_b32_f16 v6, v96, v95
	v_pack_b32_f16 v7, v112, v111
	v_fma_f16 v198, v62, s10, v197
	v_add_f16_e32 v182, v183, v182
	v_add_f16_e32 v164, v165, v164
	ds_write2_b32 v1, v6, v7 offset0:48 offset1:64
	v_pack_b32_f16 v6, v128, v127
	v_pack_b32_f16 v7, v146, v144
	v_add_f16_e32 v190, v198, v190
	ds_write2_b32 v1, v6, v7 offset0:80 offset1:96
	v_pack_b32_f16 v6, v164, v162
	v_pack_b32_f16 v7, v182, v180
	ds_write2_b32 v1, v6, v7 offset0:112 offset1:128
	v_pack_b32_f16 v6, v190, v181
	v_pack_b32_f16 v7, v172, v163
	;; [unrolled: 3-line block ×5, first 2 shown]
	v_add_u32_e32 v1, 0x200, v1
	ds_write2_b32 v1, v6, v4 offset0:112 offset1:128
.LBB0_14:
	s_or_b64 exec, exec, s[4:5]
	s_waitcnt lgkmcnt(0)
	s_barrier
	ds_read_b32 v9, v20
	v_sub_u32_e32 v6, v21, v22
	v_cmp_ne_u32_e64 s[0:1], 0, v0
                                        ; implicit-def: $vgpr8
                                        ; implicit-def: $vgpr7
                                        ; implicit-def: $vgpr4_vgpr5
	s_and_saveexec_b64 s[4:5], s[0:1]
	s_xor_b64 s[4:5], exec, s[4:5]
	s_cbranch_execz .LBB0_16
; %bb.15:
	v_mov_b32_e32 v1, 0
	v_lshlrev_b64 v[4:5], 2, v[0:1]
	v_mov_b32_e32 v7, s9
	v_add_co_u32_e64 v4, s[0:1], s8, v4
	v_addc_co_u32_e64 v5, s[0:1], v7, v5, s[0:1]
	global_load_dword v4, v[4:5], off offset:1024
	ds_read_b32 v5, v6 offset:1088
	s_waitcnt lgkmcnt(0)
	v_add_f16_e32 v7, v5, v9
	v_add_f16_sdwa v8, v5, v9 dst_sel:DWORD dst_unused:UNUSED_PAD src0_sel:WORD_1 src1_sel:WORD_1
	v_sub_f16_e32 v10, v9, v5
	v_sub_f16_sdwa v5, v9, v5 dst_sel:DWORD dst_unused:UNUSED_PAD src0_sel:WORD_1 src1_sel:WORD_1
	v_mul_f16_e32 v8, 0.5, v8
	v_mul_f16_e32 v9, 0.5, v10
	;; [unrolled: 1-line block ×3, first 2 shown]
	s_waitcnt vmcnt(0)
	v_lshrrev_b32_e32 v10, 16, v4
	v_mul_f16_e32 v11, v10, v9
	v_fma_f16 v12, v8, v10, v5
	v_fma_f16 v5, v8, v10, -v5
	v_fma_f16 v10, v7, 0.5, v11
	v_fma_f16 v12, -v4, v9, v12
	v_fma_f16 v11, v7, 0.5, -v11
	v_fma_f16 v5, -v4, v9, v5
	v_fma_f16 v7, v4, v8, v10
	ds_write_b16 v20, v12 offset:2
	v_fma_f16 v8, -v4, v8, v11
	ds_write_b16 v6, v5 offset:1090
	v_mov_b32_e32 v5, v1
	v_mov_b32_e32 v4, v0
                                        ; implicit-def: $vgpr9
.LBB0_16:
	s_andn2_saveexec_b64 s[0:1], s[4:5]
	s_cbranch_execz .LBB0_18
; %bb.17:
	v_mov_b32_e32 v1, 0
	ds_write_b16 v20, v1 offset:2
	ds_write_b16 v6, v1 offset:1090
	ds_read_u16 v1, v21 offset:546
	v_mov_b32_e32 v4, 0
	s_waitcnt lgkmcnt(3)
	v_add_f16_sdwa v7, v9, v9 dst_sel:DWORD dst_unused:UNUSED_PAD src0_sel:WORD_1 src1_sel:DWORD
	v_sub_f16_sdwa v8, v9, v9 dst_sel:DWORD dst_unused:UNUSED_PAD src0_sel:DWORD src1_sel:WORD_1
	v_mov_b32_e32 v5, 0
	s_waitcnt lgkmcnt(0)
	v_xor_b32_e32 v1, 0x8000, v1
	ds_write_b16 v21, v1 offset:546
.LBB0_18:
	s_or_b64 exec, exec, s[0:1]
	s_add_u32 s0, s8, 0x400
	v_lshlrev_b64 v[4:5], 2, v[4:5]
	s_addc_u32 s1, s9, 0
	v_mov_b32_e32 v1, s1
	s_waitcnt lgkmcnt(0)
	v_add_co_u32_e64 v9, s[0:1], s0, v4
	v_addc_co_u32_e64 v10, s[0:1], v1, v5, s[0:1]
	global_load_dword v1, v[9:10], off offset:68
	global_load_dword v11, v[9:10], off offset:136
	;; [unrolled: 1-line block ×3, first 2 shown]
	ds_write_b16 v20, v7
	ds_write_b16 v6, v8 offset:1088
	v_xor_b32_e32 v7, 0xff, v0
	v_lshl_add_u32 v13, v7, 2, v21
	ds_read2_b32 v[7:8], v20 offset0:17 offset1:34
	ds_read_b32 v14, v13
	global_load_dword v15, v[9:10], off offset:272
	global_load_dword v16, v[9:10], off offset:340
	;; [unrolled: 1-line block ×4, first 2 shown]
	s_mov_b32 s0, 0xffff
	s_waitcnt lgkmcnt(0)
	v_pk_add_f16 v9, v7, v14 neg_lo:[0,1] neg_hi:[0,1]
	v_pk_add_f16 v7, v7, v14
	v_bfi_b32 v10, s0, v9, v7
	v_bfi_b32 v7, s0, v7, v9
	v_pk_mul_f16 v9, v10, 0.5 op_sel_hi:[1,0]
	v_pk_mul_f16 v10, v7, 0.5 op_sel_hi:[1,0]
	s_waitcnt vmcnt(6)
	v_pk_mul_f16 v14, v1, v9 op_sel:[1,0]
	v_pk_mul_f16 v1, v1, v9 op_sel_hi:[0,1]
	v_pk_fma_f16 v7, v7, 0.5, v14 op_sel_hi:[1,0,1]
	v_bfi_b32 v9, s0, v10, v14
	v_bfi_b32 v10, s0, v14, v10
	v_pk_add_f16 v14, v7, v1 op_sel:[0,1] op_sel_hi:[1,0]
	v_pk_add_f16 v7, v7, v1 op_sel:[0,1] op_sel_hi:[1,0] neg_lo:[0,1] neg_hi:[0,1]
	v_pk_add_f16 v9, v9, v10 neg_lo:[0,1] neg_hi:[0,1]
	v_bfi_b32 v7, s0, v14, v7
	v_pk_add_f16 v1, v9, v1 op_sel:[0,1] op_sel_hi:[1,0] neg_lo:[0,1] neg_hi:[0,1]
	ds_write_b32 v20, v7 offset:68
	ds_write_b32 v13, v1
	ds_read_b32 v1, v6 offset:952
	s_waitcnt lgkmcnt(0)
	v_pk_add_f16 v7, v8, v1 neg_lo:[0,1] neg_hi:[0,1]
	v_pk_add_f16 v1, v8, v1
	v_bfi_b32 v8, s0, v7, v1
	v_bfi_b32 v1, s0, v1, v7
	v_pk_mul_f16 v7, v8, 0.5 op_sel_hi:[1,0]
	v_pk_mul_f16 v8, v1, 0.5 op_sel_hi:[1,0]
	s_waitcnt vmcnt(5)
	v_pk_mul_f16 v9, v11, v7 op_sel:[1,0]
	v_pk_mul_f16 v7, v11, v7 op_sel_hi:[0,1]
	v_pk_fma_f16 v1, v1, 0.5, v9 op_sel_hi:[1,0,1]
	v_sub_f16_e32 v10, v8, v9
	v_sub_f16_sdwa v8, v9, v8 dst_sel:DWORD dst_unused:UNUSED_PAD src0_sel:WORD_1 src1_sel:WORD_1
	v_pk_add_f16 v9, v1, v7 op_sel:[0,1] op_sel_hi:[1,0]
	v_pk_add_f16 v1, v1, v7 op_sel:[0,1] op_sel_hi:[1,0] neg_lo:[0,1] neg_hi:[0,1]
	v_sub_f16_sdwa v10, v10, v7 dst_sel:DWORD dst_unused:UNUSED_PAD src0_sel:DWORD src1_sel:WORD_1
	v_sub_f16_e32 v7, v8, v7
	v_bfi_b32 v1, s0, v9, v1
	ds_write_b16 v6, v7 offset:954
	ds_write_b32 v20, v1 offset:136
	ds_write_b16 v6, v10 offset:952
	ds_read_b32 v1, v20 offset:204
	ds_read_b32 v7, v6 offset:884
	s_waitcnt lgkmcnt(0)
	v_pk_add_f16 v8, v1, v7 neg_lo:[0,1] neg_hi:[0,1]
	v_pk_add_f16 v1, v1, v7
	v_bfi_b32 v7, s0, v8, v1
	v_bfi_b32 v1, s0, v1, v8
	v_pk_mul_f16 v7, v7, 0.5 op_sel_hi:[1,0]
	v_pk_mul_f16 v8, v1, 0.5 op_sel_hi:[1,0]
	s_waitcnt vmcnt(4)
	v_pk_mul_f16 v9, v12, v7 op_sel:[1,0]
	v_pk_mul_f16 v7, v12, v7 op_sel_hi:[0,1]
	v_pk_fma_f16 v1, v1, 0.5, v9 op_sel_hi:[1,0,1]
	v_sub_f16_e32 v10, v8, v9
	v_sub_f16_sdwa v8, v9, v8 dst_sel:DWORD dst_unused:UNUSED_PAD src0_sel:WORD_1 src1_sel:WORD_1
	v_pk_add_f16 v9, v1, v7 op_sel:[0,1] op_sel_hi:[1,0]
	v_pk_add_f16 v1, v1, v7 op_sel:[0,1] op_sel_hi:[1,0] neg_lo:[0,1] neg_hi:[0,1]
	v_sub_f16_sdwa v10, v10, v7 dst_sel:DWORD dst_unused:UNUSED_PAD src0_sel:DWORD src1_sel:WORD_1
	v_sub_f16_e32 v7, v8, v7
	v_bfi_b32 v1, s0, v9, v1
	ds_write_b16 v6, v7 offset:886
	ds_write_b32 v20, v1 offset:204
	ds_write_b16 v6, v10 offset:884
	ds_read_b32 v1, v20 offset:272
	ds_read_b32 v7, v6 offset:816
	s_waitcnt lgkmcnt(0)
	v_pk_add_f16 v8, v1, v7 neg_lo:[0,1] neg_hi:[0,1]
	v_pk_add_f16 v1, v1, v7
	v_bfi_b32 v7, s0, v8, v1
	v_bfi_b32 v1, s0, v1, v8
	v_pk_mul_f16 v7, v7, 0.5 op_sel_hi:[1,0]
	v_pk_mul_f16 v8, v1, 0.5 op_sel_hi:[1,0]
	s_waitcnt vmcnt(3)
	v_pk_mul_f16 v9, v15, v7 op_sel:[1,0]
	v_pk_mul_f16 v7, v15, v7 op_sel_hi:[0,1]
	v_pk_fma_f16 v1, v1, 0.5, v9 op_sel_hi:[1,0,1]
	v_sub_f16_e32 v10, v8, v9
	v_sub_f16_sdwa v8, v9, v8 dst_sel:DWORD dst_unused:UNUSED_PAD src0_sel:WORD_1 src1_sel:WORD_1
	v_pk_add_f16 v9, v1, v7 op_sel:[0,1] op_sel_hi:[1,0]
	v_pk_add_f16 v1, v1, v7 op_sel:[0,1] op_sel_hi:[1,0] neg_lo:[0,1] neg_hi:[0,1]
	v_sub_f16_sdwa v10, v10, v7 dst_sel:DWORD dst_unused:UNUSED_PAD src0_sel:DWORD src1_sel:WORD_1
	v_sub_f16_e32 v7, v8, v7
	v_bfi_b32 v1, s0, v9, v1
	ds_write_b16 v6, v7 offset:818
	ds_write_b32 v20, v1 offset:272
	ds_write_b16 v6, v10 offset:816
	ds_read_b32 v1, v20 offset:340
	ds_read_b32 v7, v6 offset:748
	s_waitcnt lgkmcnt(0)
	v_pk_add_f16 v8, v1, v7 neg_lo:[0,1] neg_hi:[0,1]
	v_pk_add_f16 v1, v1, v7
	v_bfi_b32 v7, s0, v8, v1
	v_bfi_b32 v1, s0, v1, v8
	v_pk_mul_f16 v7, v7, 0.5 op_sel_hi:[1,0]
	v_pk_mul_f16 v8, v1, 0.5 op_sel_hi:[1,0]
	s_waitcnt vmcnt(2)
	v_pk_mul_f16 v9, v16, v7 op_sel:[1,0]
	v_pk_mul_f16 v7, v16, v7 op_sel_hi:[0,1]
	v_pk_fma_f16 v1, v1, 0.5, v9 op_sel_hi:[1,0,1]
	v_sub_f16_e32 v10, v8, v9
	v_sub_f16_sdwa v8, v9, v8 dst_sel:DWORD dst_unused:UNUSED_PAD src0_sel:WORD_1 src1_sel:WORD_1
	v_pk_add_f16 v9, v1, v7 op_sel:[0,1] op_sel_hi:[1,0]
	v_pk_add_f16 v1, v1, v7 op_sel:[0,1] op_sel_hi:[1,0] neg_lo:[0,1] neg_hi:[0,1]
	v_sub_f16_sdwa v10, v10, v7 dst_sel:DWORD dst_unused:UNUSED_PAD src0_sel:DWORD src1_sel:WORD_1
	v_sub_f16_e32 v7, v8, v7
	v_bfi_b32 v1, s0, v9, v1
	ds_write_b16 v6, v7 offset:750
	ds_write_b32 v20, v1 offset:340
	ds_write_b16 v6, v10 offset:748
	ds_read_b32 v1, v20 offset:408
	ds_read_b32 v7, v6 offset:680
	s_waitcnt lgkmcnt(0)
	v_pk_add_f16 v8, v1, v7 neg_lo:[0,1] neg_hi:[0,1]
	v_pk_add_f16 v1, v1, v7
	v_bfi_b32 v7, s0, v8, v1
	v_bfi_b32 v1, s0, v1, v8
	v_pk_mul_f16 v7, v7, 0.5 op_sel_hi:[1,0]
	v_pk_mul_f16 v8, v1, 0.5 op_sel_hi:[1,0]
	s_waitcnt vmcnt(1)
	v_pk_mul_f16 v9, v17, v7 op_sel:[1,0]
	v_pk_mul_f16 v7, v17, v7 op_sel_hi:[0,1]
	v_pk_fma_f16 v1, v1, 0.5, v9 op_sel_hi:[1,0,1]
	v_sub_f16_e32 v10, v8, v9
	v_sub_f16_sdwa v8, v9, v8 dst_sel:DWORD dst_unused:UNUSED_PAD src0_sel:WORD_1 src1_sel:WORD_1
	v_pk_add_f16 v9, v1, v7 op_sel:[0,1] op_sel_hi:[1,0]
	v_pk_add_f16 v1, v1, v7 op_sel:[0,1] op_sel_hi:[1,0] neg_lo:[0,1] neg_hi:[0,1]
	v_sub_f16_sdwa v10, v10, v7 dst_sel:DWORD dst_unused:UNUSED_PAD src0_sel:DWORD src1_sel:WORD_1
	v_sub_f16_e32 v7, v8, v7
	v_bfi_b32 v1, s0, v9, v1
	ds_write_b16 v6, v7 offset:682
	ds_write_b32 v20, v1 offset:408
	ds_write_b16 v6, v10 offset:680
	ds_read_b32 v1, v20 offset:476
	ds_read_b32 v7, v6 offset:612
	s_waitcnt lgkmcnt(0)
	v_pk_add_f16 v8, v1, v7 neg_lo:[0,1] neg_hi:[0,1]
	v_pk_add_f16 v1, v1, v7
	v_bfi_b32 v7, s0, v8, v1
	v_bfi_b32 v1, s0, v1, v8
	v_pk_mul_f16 v7, v7, 0.5 op_sel_hi:[1,0]
	v_pk_mul_f16 v1, v1, 0.5 op_sel_hi:[1,0]
	s_waitcnt vmcnt(0)
	v_pk_fma_f16 v8, v18, v7, v1 op_sel:[1,0,0]
	v_pk_mul_f16 v9, v18, v7 op_sel_hi:[0,1]
	v_pk_fma_f16 v10, v18, v7, v1 op_sel:[1,0,0] neg_lo:[1,0,0] neg_hi:[1,0,0]
	v_pk_fma_f16 v1, v18, v7, v1 op_sel:[1,0,0] neg_lo:[0,0,1] neg_hi:[0,0,1]
	v_pk_add_f16 v7, v8, v9 op_sel:[0,1] op_sel_hi:[1,0]
	v_pk_add_f16 v8, v8, v9 op_sel:[0,1] op_sel_hi:[1,0] neg_lo:[0,1] neg_hi:[0,1]
	v_pk_add_f16 v10, v10, v9 op_sel:[0,1] op_sel_hi:[1,0] neg_lo:[0,1] neg_hi:[0,1]
	;; [unrolled: 1-line block ×3, first 2 shown]
	v_bfi_b32 v7, s0, v7, v8
	v_bfi_b32 v1, s0, v10, v1
	ds_write_b32 v20, v7 offset:476
	ds_write_b32 v6, v1 offset:612
	s_waitcnt lgkmcnt(0)
	s_barrier
	s_and_saveexec_b64 s[0:1], vcc
	s_cbranch_execz .LBB0_21
; %bb.19:
	ds_read2_b32 v[6:7], v20 offset1:17
	v_mov_b32_e32 v8, s3
	v_add_co_u32_e32 v1, vcc, s2, v2
	v_addc_co_u32_e32 v2, vcc, v8, v3, vcc
	ds_read2_b32 v[8:9], v20 offset0:34 offset1:51
	v_add_co_u32_e32 v3, vcc, v1, v4
	v_addc_co_u32_e32 v4, vcc, v2, v5, vcc
	s_waitcnt lgkmcnt(1)
	global_store_dword v[3:4], v6, off
	ds_read2_b32 v[5:6], v20 offset0:68 offset1:85
	global_store_dword v[3:4], v7, off offset:68
	s_waitcnt lgkmcnt(1)
	global_store_dword v[3:4], v8, off offset:136
	ds_read2_b32 v[7:8], v20 offset0:102 offset1:119
	global_store_dword v[3:4], v9, off offset:204
	s_waitcnt lgkmcnt(1)
	global_store_dword v[3:4], v5, off offset:272
	;; [unrolled: 4-line block ×3, first 2 shown]
	global_store_dword v[3:4], v8, off offset:476
	ds_read2_b32 v[5:6], v20 offset0:170 offset1:187
	ds_read2_b32 v[7:8], v20 offset0:204 offset1:221
	v_cmp_eq_u32_e32 vcc, 16, v0
	s_waitcnt lgkmcnt(2)
	global_store_dword v[3:4], v9, off offset:544
	global_store_dword v[3:4], v10, off offset:612
	ds_read2_b32 v[9:10], v20 offset0:238 offset1:255
	s_waitcnt lgkmcnt(2)
	global_store_dword v[3:4], v5, off offset:680
	global_store_dword v[3:4], v6, off offset:748
	s_waitcnt lgkmcnt(1)
	global_store_dword v[3:4], v7, off offset:816
	global_store_dword v[3:4], v8, off offset:884
	;; [unrolled: 3-line block ×3, first 2 shown]
	s_and_b64 exec, exec, vcc
	s_cbranch_execz .LBB0_21
; %bb.20:
	ds_read_b32 v0, v20 offset:1024
	s_waitcnt lgkmcnt(0)
	global_store_dword v[1:2], v0, off offset:1088
.LBB0_21:
	s_endpgm
	.section	.rodata,"a",@progbits
	.p2align	6, 0x0
	.amdhsa_kernel fft_rtc_fwd_len272_factors_16_17_wgs_119_tpt_17_halfLds_half_ip_CI_unitstride_sbrr_R2C_dirReg
		.amdhsa_group_segment_fixed_size 0
		.amdhsa_private_segment_fixed_size 0
		.amdhsa_kernarg_size 88
		.amdhsa_user_sgpr_count 6
		.amdhsa_user_sgpr_private_segment_buffer 1
		.amdhsa_user_sgpr_dispatch_ptr 0
		.amdhsa_user_sgpr_queue_ptr 0
		.amdhsa_user_sgpr_kernarg_segment_ptr 1
		.amdhsa_user_sgpr_dispatch_id 0
		.amdhsa_user_sgpr_flat_scratch_init 0
		.amdhsa_user_sgpr_private_segment_size 0
		.amdhsa_uses_dynamic_stack 0
		.amdhsa_system_sgpr_private_segment_wavefront_offset 0
		.amdhsa_system_sgpr_workgroup_id_x 1
		.amdhsa_system_sgpr_workgroup_id_y 0
		.amdhsa_system_sgpr_workgroup_id_z 0
		.amdhsa_system_sgpr_workgroup_info 0
		.amdhsa_system_vgpr_workitem_id 0
		.amdhsa_next_free_vgpr 199
		.amdhsa_next_free_sgpr 30
		.amdhsa_reserve_vcc 1
		.amdhsa_reserve_flat_scratch 0
		.amdhsa_float_round_mode_32 0
		.amdhsa_float_round_mode_16_64 0
		.amdhsa_float_denorm_mode_32 3
		.amdhsa_float_denorm_mode_16_64 3
		.amdhsa_dx10_clamp 1
		.amdhsa_ieee_mode 1
		.amdhsa_fp16_overflow 0
		.amdhsa_exception_fp_ieee_invalid_op 0
		.amdhsa_exception_fp_denorm_src 0
		.amdhsa_exception_fp_ieee_div_zero 0
		.amdhsa_exception_fp_ieee_overflow 0
		.amdhsa_exception_fp_ieee_underflow 0
		.amdhsa_exception_fp_ieee_inexact 0
		.amdhsa_exception_int_div_zero 0
	.end_amdhsa_kernel
	.text
.Lfunc_end0:
	.size	fft_rtc_fwd_len272_factors_16_17_wgs_119_tpt_17_halfLds_half_ip_CI_unitstride_sbrr_R2C_dirReg, .Lfunc_end0-fft_rtc_fwd_len272_factors_16_17_wgs_119_tpt_17_halfLds_half_ip_CI_unitstride_sbrr_R2C_dirReg
                                        ; -- End function
	.section	.AMDGPU.csdata,"",@progbits
; Kernel info:
; codeLenInByte = 10268
; NumSgprs: 34
; NumVgprs: 199
; ScratchSize: 0
; MemoryBound: 0
; FloatMode: 240
; IeeeMode: 1
; LDSByteSize: 0 bytes/workgroup (compile time only)
; SGPRBlocks: 4
; VGPRBlocks: 49
; NumSGPRsForWavesPerEU: 34
; NumVGPRsForWavesPerEU: 199
; Occupancy: 1
; WaveLimiterHint : 1
; COMPUTE_PGM_RSRC2:SCRATCH_EN: 0
; COMPUTE_PGM_RSRC2:USER_SGPR: 6
; COMPUTE_PGM_RSRC2:TRAP_HANDLER: 0
; COMPUTE_PGM_RSRC2:TGID_X_EN: 1
; COMPUTE_PGM_RSRC2:TGID_Y_EN: 0
; COMPUTE_PGM_RSRC2:TGID_Z_EN: 0
; COMPUTE_PGM_RSRC2:TIDIG_COMP_CNT: 0
	.type	__hip_cuid_9d79fe7424598397,@object ; @__hip_cuid_9d79fe7424598397
	.section	.bss,"aw",@nobits
	.globl	__hip_cuid_9d79fe7424598397
__hip_cuid_9d79fe7424598397:
	.byte	0                               ; 0x0
	.size	__hip_cuid_9d79fe7424598397, 1

	.ident	"AMD clang version 19.0.0git (https://github.com/RadeonOpenCompute/llvm-project roc-6.4.0 25133 c7fe45cf4b819c5991fe208aaa96edf142730f1d)"
	.section	".note.GNU-stack","",@progbits
	.addrsig
	.addrsig_sym __hip_cuid_9d79fe7424598397
	.amdgpu_metadata
---
amdhsa.kernels:
  - .args:
      - .actual_access:  read_only
        .address_space:  global
        .offset:         0
        .size:           8
        .value_kind:     global_buffer
      - .offset:         8
        .size:           8
        .value_kind:     by_value
      - .actual_access:  read_only
        .address_space:  global
        .offset:         16
        .size:           8
        .value_kind:     global_buffer
      - .actual_access:  read_only
        .address_space:  global
        .offset:         24
        .size:           8
        .value_kind:     global_buffer
      - .offset:         32
        .size:           8
        .value_kind:     by_value
      - .actual_access:  read_only
        .address_space:  global
        .offset:         40
        .size:           8
        .value_kind:     global_buffer
      - .actual_access:  read_only
        .address_space:  global
        .offset:         48
        .size:           8
        .value_kind:     global_buffer
      - .offset:         56
        .size:           4
        .value_kind:     by_value
      - .actual_access:  read_only
        .address_space:  global
        .offset:         64
        .size:           8
        .value_kind:     global_buffer
      - .actual_access:  read_only
        .address_space:  global
        .offset:         72
        .size:           8
        .value_kind:     global_buffer
      - .address_space:  global
        .offset:         80
        .size:           8
        .value_kind:     global_buffer
    .group_segment_fixed_size: 0
    .kernarg_segment_align: 8
    .kernarg_segment_size: 88
    .language:       OpenCL C
    .language_version:
      - 2
      - 0
    .max_flat_workgroup_size: 119
    .name:           fft_rtc_fwd_len272_factors_16_17_wgs_119_tpt_17_halfLds_half_ip_CI_unitstride_sbrr_R2C_dirReg
    .private_segment_fixed_size: 0
    .sgpr_count:     34
    .sgpr_spill_count: 0
    .symbol:         fft_rtc_fwd_len272_factors_16_17_wgs_119_tpt_17_halfLds_half_ip_CI_unitstride_sbrr_R2C_dirReg.kd
    .uniform_work_group_size: 1
    .uses_dynamic_stack: false
    .vgpr_count:     199
    .vgpr_spill_count: 0
    .wavefront_size: 64
amdhsa.target:   amdgcn-amd-amdhsa--gfx906
amdhsa.version:
  - 1
  - 2
...

	.end_amdgpu_metadata
